;; amdgpu-corpus repo=ROCm/vllm kind=compiled arch=gfx1100 opt=O3
	.text
	.amdgcn_target "amdgcn-amd-amdhsa--gfx1100"
	.amdhsa_code_object_version 6
	.section	.text._ZN4vllm24merge_attn_states_kernelIfLj128EEEvPT_PfPKS1_PKfS5_S7_jjj,"axG",@progbits,_ZN4vllm24merge_attn_states_kernelIfLj128EEEvPT_PfPKS1_PKfS5_S7_jjj,comdat
	.protected	_ZN4vllm24merge_attn_states_kernelIfLj128EEEvPT_PfPKS1_PKfS5_S7_jjj ; -- Begin function _ZN4vllm24merge_attn_states_kernelIfLj128EEEvPT_PfPKS1_PKfS5_S7_jjj
	.globl	_ZN4vllm24merge_attn_states_kernelIfLj128EEEvPT_PfPKS1_PKfS5_S7_jjj
	.p2align	8
	.type	_ZN4vllm24merge_attn_states_kernelIfLj128EEEvPT_PfPKS1_PKfS5_S7_jjj,@function
_ZN4vllm24merge_attn_states_kernelIfLj128EEEvPT_PfPKS1_PKfS5_S7_jjj: ; @_ZN4vllm24merge_attn_states_kernelIfLj128EEEvPT_PfPKS1_PKfS5_S7_jjj
; %bb.0:
	s_load_b128 s[16:19], s[0:1], 0x30
	v_lshl_add_u32 v2, s15, 7, v0
	s_waitcnt lgkmcnt(0)
	s_lshr_b32 s2, s18, 2
	s_mul_i32 s3, s17, s16
	s_delay_alu instid0(SALU_CYCLE_1) | instskip(NEXT) | instid1(SALU_CYCLE_1)
	s_mul_i32 s3, s3, s2
	v_cmp_gt_u32_e32 vcc_lo, s3, v2
	s_and_saveexec_b32 s3, vcc_lo
	s_cbranch_execz .LBB0_5
; %bb.1:
	v_cvt_f32_u32_e32 v0, s2
	v_cvt_f32_u32_e32 v3, s17
	s_sub_i32 s3, 0, s2
	s_clause 0x1
	s_load_b128 s[12:15], s[0:1], 0x20
	s_load_b256 s[4:11], s[0:1], 0x0
	v_rcp_iflag_f32_e32 v0, v0
	v_rcp_iflag_f32_e32 v3, v3
	s_mov_b32 s1, exec_lo
	s_waitcnt_depctr 0xfff
	v_mul_f32_e32 v0, 0x4f7ffffe, v0
	s_delay_alu instid0(VALU_DEP_1) | instskip(NEXT) | instid1(VALU_DEP_1)
	v_cvt_u32_f32_e32 v0, v0
	v_mul_lo_u32 v1, s3, v0
	s_sub_i32 s3, 0, s17
	s_delay_alu instid0(VALU_DEP_1) | instskip(NEXT) | instid1(VALU_DEP_1)
	v_mul_hi_u32 v1, v0, v1
	v_dual_mul_f32 v1, 0x4f7ffffe, v3 :: v_dual_add_nc_u32 v0, v0, v1
	s_delay_alu instid0(VALU_DEP_1) | instskip(NEXT) | instid1(VALU_DEP_2)
	v_mul_hi_u32 v0, v2, v0
	v_cvt_u32_f32_e32 v1, v1
	s_delay_alu instid0(VALU_DEP_1) | instskip(NEXT) | instid1(VALU_DEP_3)
	v_mul_lo_u32 v4, s3, v1
	v_mul_lo_u32 v3, v0, s2
	v_add_nc_u32_e32 v5, 1, v0
	s_delay_alu instid0(VALU_DEP_3) | instskip(NEXT) | instid1(VALU_DEP_3)
	v_mul_hi_u32 v4, v1, v4
	v_sub_nc_u32_e32 v3, v2, v3
	s_delay_alu instid0(VALU_DEP_1) | instskip(SKIP_1) | instid1(VALU_DEP_4)
	v_subrev_nc_u32_e32 v6, s2, v3
	v_cmp_le_u32_e32 vcc_lo, s2, v3
	v_dual_cndmask_b32 v0, v0, v5 :: v_dual_add_nc_u32 v1, v1, v4
	s_delay_alu instid0(VALU_DEP_3) | instskip(NEXT) | instid1(VALU_DEP_2)
	v_cndmask_b32_e32 v3, v3, v6, vcc_lo
	v_add_nc_u32_e32 v5, 1, v0
	s_delay_alu instid0(VALU_DEP_2) | instskip(NEXT) | instid1(VALU_DEP_2)
	v_cmp_le_u32_e32 vcc_lo, s2, v3
	v_cndmask_b32_e32 v3, v0, v5, vcc_lo
	s_delay_alu instid0(VALU_DEP_1) | instskip(NEXT) | instid1(VALU_DEP_1)
	v_mul_hi_u32 v0, v3, v1
	v_add_nc_u32_e32 v4, 1, v0
	v_mul_lo_u32 v1, v0, s17
	s_delay_alu instid0(VALU_DEP_1) | instskip(NEXT) | instid1(VALU_DEP_1)
	v_sub_nc_u32_e32 v1, v3, v1
	v_subrev_nc_u32_e32 v5, s17, v1
	v_cmp_le_u32_e32 vcc_lo, s17, v1
	s_delay_alu instid0(VALU_DEP_2) | instskip(NEXT) | instid1(VALU_DEP_1)
	v_dual_cndmask_b32 v0, v0, v4 :: v_dual_cndmask_b32 v1, v1, v5
	v_add_nc_u32_e32 v4, 1, v0
	s_delay_alu instid0(VALU_DEP_2) | instskip(NEXT) | instid1(VALU_DEP_2)
	v_cmp_le_u32_e32 vcc_lo, s17, v1
	v_cndmask_b32_e32 v0, v0, v4, vcc_lo
	s_delay_alu instid0(VALU_DEP_1) | instskip(NEXT) | instid1(VALU_DEP_1)
	v_mul_lo_u32 v1, v0, s17
	v_sub_nc_u32_e32 v1, v3, v1
	s_delay_alu instid0(VALU_DEP_1) | instskip(SKIP_1) | instid1(VALU_DEP_1)
	v_mad_u64_u32 v[4:5], null, v1, s16, v[0:1]
	v_mov_b32_e32 v5, 0
	v_lshlrev_b64 v[0:1], 2, v[4:5]
	s_waitcnt lgkmcnt(0)
	s_delay_alu instid0(VALU_DEP_1) | instskip(NEXT) | instid1(VALU_DEP_2)
	v_add_co_u32 v6, vcc_lo, s14, v0
	v_add_co_ci_u32_e32 v7, vcc_lo, s15, v1, vcc_lo
	v_add_co_u32 v8, vcc_lo, s10, v0
	v_add_co_ci_u32_e32 v9, vcc_lo, s11, v1, vcc_lo
	global_load_b32 v4, v[6:7], off
	global_load_b32 v6, v[8:9], off
	s_waitcnt vmcnt(1)
	v_cmp_neq_f32_e64 vcc_lo, 0x7f800000, |v4|
	v_cndmask_b32_e32 v4, 0xff800000, v4, vcc_lo
	s_waitcnt vmcnt(0)
	v_cmp_neq_f32_e64 vcc_lo, 0x7f800000, |v6|
	s_delay_alu instid0(VALU_DEP_2) | instskip(NEXT) | instid1(VALU_DEP_1)
	v_dual_cndmask_b32 v7, 0xff800000, v6 :: v_dual_max_f32 v6, v4, v4
	v_max_f32_e32 v8, v7, v7
	s_delay_alu instid0(VALU_DEP_1) | instskip(NEXT) | instid1(VALU_DEP_1)
	v_max_f32_e32 v6, v8, v6
	v_sub_f32_e32 v7, v7, v6
	v_sub_f32_e32 v4, v4, v6
	s_delay_alu instid0(VALU_DEP_1) | instskip(SKIP_1) | instid1(VALU_DEP_2)
	v_dual_mul_f32 v8, 0x3fb8aa3b, v7 :: v_dual_mul_f32 v9, 0x3fb8aa3b, v4
	v_cmp_ngt_f32_e32 vcc_lo, 0xc2ce8ed0, v7
	v_fma_f32 v10, 0x3fb8aa3b, v7, -v8
	v_rndne_f32_e32 v11, v8
	s_delay_alu instid0(VALU_DEP_4) | instskip(SKIP_1) | instid1(VALU_DEP_4)
	v_fma_f32 v12, 0x3fb8aa3b, v4, -v9
	v_rndne_f32_e32 v13, v9
	v_fmac_f32_e32 v10, 0x32a5705f, v7
	s_delay_alu instid0(VALU_DEP_4) | instskip(NEXT) | instid1(VALU_DEP_3)
	v_sub_f32_e32 v8, v8, v11
	v_dual_fmac_f32 v12, 0x32a5705f, v4 :: v_dual_sub_f32 v9, v9, v13
	s_delay_alu instid0(VALU_DEP_2) | instskip(SKIP_1) | instid1(VALU_DEP_3)
	v_add_f32_e32 v8, v8, v10
	v_cvt_i32_f32_e32 v10, v11
	v_add_f32_e32 v9, v9, v12
	v_cvt_i32_f32_e32 v11, v13
	v_mul_lo_u32 v12, v3, s2
	v_exp_f32_e32 v8, v8
	s_delay_alu instid0(VALU_DEP_3) | instskip(NEXT) | instid1(VALU_DEP_1)
	v_exp_f32_e32 v9, v9
	v_sub_nc_u32_e32 v2, v2, v12
	s_waitcnt_depctr 0xfff
	v_ldexp_f32 v8, v8, v10
	v_ldexp_f32 v9, v9, v11
	s_delay_alu instid0(VALU_DEP_2) | instskip(SKIP_1) | instid1(VALU_DEP_3)
	v_cndmask_b32_e32 v8, 0, v8, vcc_lo
	v_cmp_ngt_f32_e32 vcc_lo, 0xc2ce8ed0, v4
	v_cndmask_b32_e32 v9, 0, v9, vcc_lo
	v_cmp_nlt_f32_e32 vcc_lo, 0x42b17218, v7
	s_delay_alu instid0(VALU_DEP_4) | instskip(SKIP_1) | instid1(VALU_DEP_4)
	v_cndmask_b32_e32 v8, 0x7f800000, v8, vcc_lo
	v_cmp_nlt_f32_e32 vcc_lo, 0x42b17218, v4
	v_dual_cndmask_b32 v9, 0x7f800000, v9 :: v_dual_lshlrev_b32 v4, 2, v2
	s_delay_alu instid0(VALU_DEP_1) | instskip(NEXT) | instid1(VALU_DEP_2)
	v_add_f32_e32 v7, v8, v9
	v_cmpx_gt_u32_e64 s18, v4
	s_cbranch_execz .LBB0_3
; %bb.2:
	s_delay_alu instid0(VALU_DEP_2) | instskip(SKIP_1) | instid1(VALU_DEP_2)
	v_div_scale_f32 v20, null, v7, v7, v8
	v_mul_lo_u32 v4, v3, s18
	v_rcp_f32_e32 v22, v20
	s_waitcnt_depctr 0xfff
	v_fma_f32 v24, -v20, v22, 1.0
	v_mov_b32_e32 v3, v5
	v_lshlrev_b64 v[4:5], 2, v[4:5]
	s_delay_alu instid0(VALU_DEP_3) | instskip(NEXT) | instid1(VALU_DEP_3)
	v_fmac_f32_e32 v22, v24, v22
	v_lshlrev_b64 v[18:19], 4, v[2:3]
	s_delay_alu instid0(VALU_DEP_3) | instskip(NEXT) | instid1(VALU_DEP_4)
	v_add_co_u32 v3, vcc_lo, s12, v4
	v_add_co_ci_u32_e32 v11, vcc_lo, s13, v5, vcc_lo
	s_delay_alu instid0(VALU_DEP_2) | instskip(NEXT) | instid1(VALU_DEP_2)
	v_add_co_u32 v10, vcc_lo, v3, v18
	v_add_co_ci_u32_e32 v11, vcc_lo, v11, v19, vcc_lo
	v_add_co_u32 v3, vcc_lo, s8, v4
	v_add_co_ci_u32_e32 v15, vcc_lo, s9, v5, vcc_lo
	global_load_b128 v[10:13], v[10:11], off
	v_add_co_u32 v14, vcc_lo, v3, v18
	v_add_co_ci_u32_e32 v15, vcc_lo, v15, v19, vcc_lo
	v_div_scale_f32 v3, null, v7, v7, v9
	v_div_scale_f32 v25, vcc_lo, v9, v7, v9
	global_load_b128 v[14:17], v[14:15], off
	v_rcp_f32_e32 v21, v3
	s_waitcnt_depctr 0xfff
	v_fma_f32 v23, -v3, v21, 1.0
	s_delay_alu instid0(VALU_DEP_1) | instskip(SKIP_1) | instid1(VALU_DEP_1)
	v_fmac_f32_e32 v21, v23, v21
	v_div_scale_f32 v23, s0, v8, v7, v8
	v_mul_f32_e32 v26, v23, v22
	s_delay_alu instid0(VALU_DEP_1) | instskip(NEXT) | instid1(VALU_DEP_1)
	v_fma_f32 v28, -v20, v26, v23
	v_fmac_f32_e32 v26, v28, v22
	v_mul_f32_e32 v24, v25, v21
	s_delay_alu instid0(VALU_DEP_2) | instskip(NEXT) | instid1(VALU_DEP_2)
	v_fma_f32 v20, -v20, v26, v23
	v_fma_f32 v27, -v3, v24, v25
	s_delay_alu instid0(VALU_DEP_1) | instskip(NEXT) | instid1(VALU_DEP_1)
	v_fmac_f32_e32 v24, v27, v21
	v_fma_f32 v3, -v3, v24, v25
	s_delay_alu instid0(VALU_DEP_1) | instskip(SKIP_2) | instid1(VALU_DEP_2)
	v_div_fmas_f32 v3, v3, v21, v24
	s_mov_b32 vcc_lo, s0
	v_div_fmas_f32 v20, v20, v22, v26
	v_div_fixup_f32 v3, v3, v7, v9
	s_delay_alu instid0(VALU_DEP_2) | instskip(SKIP_1) | instid1(VALU_DEP_2)
	v_div_fixup_f32 v20, v20, v7, v8
	s_waitcnt vmcnt(1)
	v_mul_f32_e32 v9, v3, v11
	v_mul_f32_e32 v11, v3, v13
	;; [unrolled: 1-line block ×4, first 2 shown]
	v_add_co_u32 v3, vcc_lo, s4, v4
	v_add_co_ci_u32_e32 v4, vcc_lo, s5, v5, vcc_lo
	s_waitcnt vmcnt(0)
	v_fmac_f32_e32 v11, v20, v17
	s_delay_alu instid0(VALU_DEP_3)
	v_add_co_u32 v3, vcc_lo, v3, v18
	v_fmac_f32_e32 v8, v20, v14
	v_fmac_f32_e32 v9, v20, v15
	;; [unrolled: 1-line block ×3, first 2 shown]
	v_add_co_ci_u32_e32 v4, vcc_lo, v4, v19, vcc_lo
	global_store_b128 v[3:4], v[8:11], off
.LBB0_3:
	s_or_b32 exec_lo, exec_lo, s1
	v_cmp_eq_u32_e32 vcc_lo, 0, v2
	s_cmp_lg_u64 s[6:7], 0
	s_cselect_b32 s0, -1, 0
	s_delay_alu instid0(SALU_CYCLE_1) | instskip(NEXT) | instid1(SALU_CYCLE_1)
	s_and_b32 s0, s0, vcc_lo
	s_and_b32 exec_lo, exec_lo, s0
	s_cbranch_execz .LBB0_5
; %bb.4:
	v_cmp_gt_f32_e32 vcc_lo, 0x800000, v7
	v_cndmask_b32_e64 v2, 1.0, 0x4f800000, vcc_lo
	s_delay_alu instid0(VALU_DEP_1) | instskip(NEXT) | instid1(VALU_DEP_1)
	v_mul_f32_e32 v2, v7, v2
	v_log_f32_e32 v2, v2
	s_waitcnt_depctr 0xfff
	v_mul_f32_e32 v3, 0x3f317217, v2
	v_cmp_gt_f32_e64 s0, 0x7f800000, |v2|
	s_delay_alu instid0(VALU_DEP_2) | instskip(NEXT) | instid1(VALU_DEP_1)
	v_fma_f32 v4, 0x3f317217, v2, -v3
	v_fmamk_f32 v4, v2, 0x3377d1cf, v4
	s_delay_alu instid0(VALU_DEP_1) | instskip(NEXT) | instid1(VALU_DEP_1)
	v_add_f32_e32 v3, v3, v4
	v_cndmask_b32_e64 v2, v2, v3, s0
	v_cndmask_b32_e64 v3, 0, 0x41b17218, vcc_lo
	v_add_co_u32 v0, vcc_lo, s6, v0
	v_add_co_ci_u32_e32 v1, vcc_lo, s7, v1, vcc_lo
	s_delay_alu instid0(VALU_DEP_3) | instskip(NEXT) | instid1(VALU_DEP_1)
	v_sub_f32_e32 v2, v2, v3
	v_add_f32_e32 v2, v6, v2
	global_store_b32 v[0:1], v2, off
.LBB0_5:
	s_nop 0
	s_sendmsg sendmsg(MSG_DEALLOC_VGPRS)
	s_endpgm
	.section	.rodata,"a",@progbits
	.p2align	6, 0x0
	.amdhsa_kernel _ZN4vllm24merge_attn_states_kernelIfLj128EEEvPT_PfPKS1_PKfS5_S7_jjj
		.amdhsa_group_segment_fixed_size 0
		.amdhsa_private_segment_fixed_size 0
		.amdhsa_kernarg_size 60
		.amdhsa_user_sgpr_count 15
		.amdhsa_user_sgpr_dispatch_ptr 0
		.amdhsa_user_sgpr_queue_ptr 0
		.amdhsa_user_sgpr_kernarg_segment_ptr 1
		.amdhsa_user_sgpr_dispatch_id 0
		.amdhsa_user_sgpr_private_segment_size 0
		.amdhsa_wavefront_size32 1
		.amdhsa_uses_dynamic_stack 0
		.amdhsa_enable_private_segment 0
		.amdhsa_system_sgpr_workgroup_id_x 1
		.amdhsa_system_sgpr_workgroup_id_y 0
		.amdhsa_system_sgpr_workgroup_id_z 0
		.amdhsa_system_sgpr_workgroup_info 0
		.amdhsa_system_vgpr_workitem_id 0
		.amdhsa_next_free_vgpr 29
		.amdhsa_next_free_sgpr 20
		.amdhsa_reserve_vcc 1
		.amdhsa_float_round_mode_32 0
		.amdhsa_float_round_mode_16_64 0
		.amdhsa_float_denorm_mode_32 3
		.amdhsa_float_denorm_mode_16_64 3
		.amdhsa_dx10_clamp 1
		.amdhsa_ieee_mode 1
		.amdhsa_fp16_overflow 0
		.amdhsa_workgroup_processor_mode 1
		.amdhsa_memory_ordered 1
		.amdhsa_forward_progress 0
		.amdhsa_shared_vgpr_count 0
		.amdhsa_exception_fp_ieee_invalid_op 0
		.amdhsa_exception_fp_denorm_src 0
		.amdhsa_exception_fp_ieee_div_zero 0
		.amdhsa_exception_fp_ieee_overflow 0
		.amdhsa_exception_fp_ieee_underflow 0
		.amdhsa_exception_fp_ieee_inexact 0
		.amdhsa_exception_int_div_zero 0
	.end_amdhsa_kernel
	.section	.text._ZN4vllm24merge_attn_states_kernelIfLj128EEEvPT_PfPKS1_PKfS5_S7_jjj,"axG",@progbits,_ZN4vllm24merge_attn_states_kernelIfLj128EEEvPT_PfPKS1_PKfS5_S7_jjj,comdat
.Lfunc_end0:
	.size	_ZN4vllm24merge_attn_states_kernelIfLj128EEEvPT_PfPKS1_PKfS5_S7_jjj, .Lfunc_end0-_ZN4vllm24merge_attn_states_kernelIfLj128EEEvPT_PfPKS1_PKfS5_S7_jjj
                                        ; -- End function
	.section	.AMDGPU.csdata,"",@progbits
; Kernel info:
; codeLenInByte = 1260
; NumSgprs: 22
; NumVgprs: 29
; ScratchSize: 0
; MemoryBound: 0
; FloatMode: 240
; IeeeMode: 1
; LDSByteSize: 0 bytes/workgroup (compile time only)
; SGPRBlocks: 2
; VGPRBlocks: 3
; NumSGPRsForWavesPerEU: 22
; NumVGPRsForWavesPerEU: 29
; Occupancy: 16
; WaveLimiterHint : 0
; COMPUTE_PGM_RSRC2:SCRATCH_EN: 0
; COMPUTE_PGM_RSRC2:USER_SGPR: 15
; COMPUTE_PGM_RSRC2:TRAP_HANDLER: 0
; COMPUTE_PGM_RSRC2:TGID_X_EN: 1
; COMPUTE_PGM_RSRC2:TGID_Y_EN: 0
; COMPUTE_PGM_RSRC2:TGID_Z_EN: 0
; COMPUTE_PGM_RSRC2:TIDIG_COMP_CNT: 0
	.section	.text._ZN4vllm24merge_attn_states_kernelItLj128EEEvPT_PfPKS1_PKfS5_S7_jjj,"axG",@progbits,_ZN4vllm24merge_attn_states_kernelItLj128EEEvPT_PfPKS1_PKfS5_S7_jjj,comdat
	.protected	_ZN4vllm24merge_attn_states_kernelItLj128EEEvPT_PfPKS1_PKfS5_S7_jjj ; -- Begin function _ZN4vllm24merge_attn_states_kernelItLj128EEEvPT_PfPKS1_PKfS5_S7_jjj
	.globl	_ZN4vllm24merge_attn_states_kernelItLj128EEEvPT_PfPKS1_PKfS5_S7_jjj
	.p2align	8
	.type	_ZN4vllm24merge_attn_states_kernelItLj128EEEvPT_PfPKS1_PKfS5_S7_jjj,@function
_ZN4vllm24merge_attn_states_kernelItLj128EEEvPT_PfPKS1_PKfS5_S7_jjj: ; @_ZN4vllm24merge_attn_states_kernelItLj128EEEvPT_PfPKS1_PKfS5_S7_jjj
; %bb.0:
	s_load_b128 s[16:19], s[0:1], 0x30
	v_lshl_add_u32 v2, s15, 7, v0
	s_waitcnt lgkmcnt(0)
	s_lshr_b32 s2, s18, 3
	s_mul_i32 s3, s17, s16
	s_delay_alu instid0(SALU_CYCLE_1) | instskip(NEXT) | instid1(SALU_CYCLE_1)
	s_mul_i32 s3, s3, s2
	v_cmp_gt_u32_e32 vcc_lo, s3, v2
	s_and_saveexec_b32 s3, vcc_lo
	s_cbranch_execz .LBB1_5
; %bb.1:
	v_cvt_f32_u32_e32 v0, s2
	v_cvt_f32_u32_e32 v3, s17
	s_sub_i32 s3, 0, s2
	s_clause 0x1
	s_load_b128 s[12:15], s[0:1], 0x20
	s_load_b256 s[4:11], s[0:1], 0x0
	v_rcp_iflag_f32_e32 v0, v0
	v_rcp_iflag_f32_e32 v3, v3
	s_mov_b32 s1, exec_lo
	s_waitcnt_depctr 0xfff
	v_mul_f32_e32 v0, 0x4f7ffffe, v0
	s_delay_alu instid0(VALU_DEP_1) | instskip(NEXT) | instid1(VALU_DEP_1)
	v_cvt_u32_f32_e32 v0, v0
	v_mul_lo_u32 v1, s3, v0
	s_sub_i32 s3, 0, s17
	s_delay_alu instid0(VALU_DEP_1) | instskip(NEXT) | instid1(VALU_DEP_1)
	v_mul_hi_u32 v1, v0, v1
	v_dual_mul_f32 v1, 0x4f7ffffe, v3 :: v_dual_add_nc_u32 v0, v0, v1
	s_delay_alu instid0(VALU_DEP_1) | instskip(NEXT) | instid1(VALU_DEP_2)
	v_mul_hi_u32 v0, v2, v0
	v_cvt_u32_f32_e32 v1, v1
	s_delay_alu instid0(VALU_DEP_1) | instskip(NEXT) | instid1(VALU_DEP_3)
	v_mul_lo_u32 v4, s3, v1
	v_mul_lo_u32 v3, v0, s2
	v_add_nc_u32_e32 v5, 1, v0
	s_delay_alu instid0(VALU_DEP_3) | instskip(NEXT) | instid1(VALU_DEP_3)
	v_mul_hi_u32 v4, v1, v4
	v_sub_nc_u32_e32 v3, v2, v3
	s_delay_alu instid0(VALU_DEP_1) | instskip(SKIP_1) | instid1(VALU_DEP_4)
	v_subrev_nc_u32_e32 v6, s2, v3
	v_cmp_le_u32_e32 vcc_lo, s2, v3
	v_dual_cndmask_b32 v0, v0, v5 :: v_dual_add_nc_u32 v1, v1, v4
	s_delay_alu instid0(VALU_DEP_3) | instskip(NEXT) | instid1(VALU_DEP_2)
	v_cndmask_b32_e32 v3, v3, v6, vcc_lo
	v_add_nc_u32_e32 v5, 1, v0
	s_delay_alu instid0(VALU_DEP_2) | instskip(NEXT) | instid1(VALU_DEP_2)
	v_cmp_le_u32_e32 vcc_lo, s2, v3
	v_cndmask_b32_e32 v3, v0, v5, vcc_lo
	s_delay_alu instid0(VALU_DEP_1) | instskip(NEXT) | instid1(VALU_DEP_1)
	v_mul_hi_u32 v0, v3, v1
	v_add_nc_u32_e32 v4, 1, v0
	v_mul_lo_u32 v1, v0, s17
	s_delay_alu instid0(VALU_DEP_1) | instskip(NEXT) | instid1(VALU_DEP_1)
	v_sub_nc_u32_e32 v1, v3, v1
	v_subrev_nc_u32_e32 v5, s17, v1
	v_cmp_le_u32_e32 vcc_lo, s17, v1
	s_delay_alu instid0(VALU_DEP_2) | instskip(NEXT) | instid1(VALU_DEP_1)
	v_dual_cndmask_b32 v0, v0, v4 :: v_dual_cndmask_b32 v1, v1, v5
	v_add_nc_u32_e32 v4, 1, v0
	s_delay_alu instid0(VALU_DEP_2) | instskip(NEXT) | instid1(VALU_DEP_2)
	v_cmp_le_u32_e32 vcc_lo, s17, v1
	v_cndmask_b32_e32 v0, v0, v4, vcc_lo
	s_delay_alu instid0(VALU_DEP_1) | instskip(NEXT) | instid1(VALU_DEP_1)
	v_mul_lo_u32 v1, v0, s17
	v_sub_nc_u32_e32 v1, v3, v1
	s_delay_alu instid0(VALU_DEP_1) | instskip(SKIP_1) | instid1(VALU_DEP_1)
	v_mad_u64_u32 v[4:5], null, v1, s16, v[0:1]
	v_mov_b32_e32 v5, 0
	v_lshlrev_b64 v[0:1], 2, v[4:5]
	s_waitcnt lgkmcnt(0)
	s_delay_alu instid0(VALU_DEP_1) | instskip(NEXT) | instid1(VALU_DEP_2)
	v_add_co_u32 v6, vcc_lo, s14, v0
	v_add_co_ci_u32_e32 v7, vcc_lo, s15, v1, vcc_lo
	v_add_co_u32 v8, vcc_lo, s10, v0
	v_add_co_ci_u32_e32 v9, vcc_lo, s11, v1, vcc_lo
	global_load_b32 v4, v[6:7], off
	global_load_b32 v6, v[8:9], off
	s_waitcnt vmcnt(1)
	v_cmp_neq_f32_e64 vcc_lo, 0x7f800000, |v4|
	v_cndmask_b32_e32 v4, 0xff800000, v4, vcc_lo
	s_waitcnt vmcnt(0)
	v_cmp_neq_f32_e64 vcc_lo, 0x7f800000, |v6|
	s_delay_alu instid0(VALU_DEP_2) | instskip(NEXT) | instid1(VALU_DEP_1)
	v_dual_cndmask_b32 v7, 0xff800000, v6 :: v_dual_max_f32 v6, v4, v4
	v_max_f32_e32 v8, v7, v7
	s_delay_alu instid0(VALU_DEP_1) | instskip(NEXT) | instid1(VALU_DEP_1)
	v_max_f32_e32 v6, v8, v6
	v_sub_f32_e32 v7, v7, v6
	v_sub_f32_e32 v4, v4, v6
	s_delay_alu instid0(VALU_DEP_1) | instskip(SKIP_1) | instid1(VALU_DEP_2)
	v_dual_mul_f32 v8, 0x3fb8aa3b, v7 :: v_dual_mul_f32 v9, 0x3fb8aa3b, v4
	v_cmp_ngt_f32_e32 vcc_lo, 0xc2ce8ed0, v7
	v_fma_f32 v10, 0x3fb8aa3b, v7, -v8
	v_rndne_f32_e32 v11, v8
	s_delay_alu instid0(VALU_DEP_4) | instskip(SKIP_1) | instid1(VALU_DEP_4)
	v_fma_f32 v12, 0x3fb8aa3b, v4, -v9
	v_rndne_f32_e32 v13, v9
	v_fmac_f32_e32 v10, 0x32a5705f, v7
	s_delay_alu instid0(VALU_DEP_4) | instskip(NEXT) | instid1(VALU_DEP_3)
	v_sub_f32_e32 v8, v8, v11
	v_dual_fmac_f32 v12, 0x32a5705f, v4 :: v_dual_sub_f32 v9, v9, v13
	s_delay_alu instid0(VALU_DEP_2) | instskip(SKIP_1) | instid1(VALU_DEP_3)
	v_add_f32_e32 v8, v8, v10
	v_cvt_i32_f32_e32 v10, v11
	v_add_f32_e32 v9, v9, v12
	v_cvt_i32_f32_e32 v11, v13
	v_mul_lo_u32 v12, v3, s2
	v_exp_f32_e32 v8, v8
	s_delay_alu instid0(VALU_DEP_3) | instskip(NEXT) | instid1(VALU_DEP_1)
	v_exp_f32_e32 v9, v9
	v_sub_nc_u32_e32 v2, v2, v12
	s_waitcnt_depctr 0xfff
	v_ldexp_f32 v8, v8, v10
	v_ldexp_f32 v9, v9, v11
	s_delay_alu instid0(VALU_DEP_2) | instskip(SKIP_1) | instid1(VALU_DEP_3)
	v_cndmask_b32_e32 v8, 0, v8, vcc_lo
	v_cmp_ngt_f32_e32 vcc_lo, 0xc2ce8ed0, v4
	v_cndmask_b32_e32 v9, 0, v9, vcc_lo
	v_cmp_nlt_f32_e32 vcc_lo, 0x42b17218, v7
	s_delay_alu instid0(VALU_DEP_4) | instskip(SKIP_1) | instid1(VALU_DEP_4)
	v_cndmask_b32_e32 v8, 0x7f800000, v8, vcc_lo
	v_cmp_nlt_f32_e32 vcc_lo, 0x42b17218, v4
	v_dual_cndmask_b32 v9, 0x7f800000, v9 :: v_dual_lshlrev_b32 v4, 3, v2
	s_delay_alu instid0(VALU_DEP_1) | instskip(NEXT) | instid1(VALU_DEP_2)
	v_add_f32_e32 v7, v8, v9
	v_cmpx_gt_u32_e64 s18, v4
	s_cbranch_execz .LBB1_3
; %bb.2:
	s_delay_alu instid0(VALU_DEP_2) | instskip(SKIP_1) | instid1(VALU_DEP_2)
	v_div_scale_f32 v20, null, v7, v7, v8
	v_mul_lo_u32 v4, v3, s18
	v_rcp_f32_e32 v22, v20
	s_waitcnt_depctr 0xfff
	v_fma_f32 v24, -v20, v22, 1.0
	v_mov_b32_e32 v3, v5
	v_lshlrev_b64 v[4:5], 1, v[4:5]
	s_delay_alu instid0(VALU_DEP_3) | instskip(NEXT) | instid1(VALU_DEP_3)
	v_fmac_f32_e32 v22, v24, v22
	v_lshlrev_b64 v[18:19], 4, v[2:3]
	s_delay_alu instid0(VALU_DEP_3) | instskip(NEXT) | instid1(VALU_DEP_4)
	v_add_co_u32 v3, vcc_lo, s8, v4
	v_add_co_ci_u32_e32 v11, vcc_lo, s9, v5, vcc_lo
	v_add_co_u32 v12, vcc_lo, s12, v4
	v_add_co_ci_u32_e32 v13, vcc_lo, s13, v5, vcc_lo
	s_delay_alu instid0(VALU_DEP_4) | instskip(NEXT) | instid1(VALU_DEP_4)
	v_add_co_u32 v10, vcc_lo, v3, v18
	v_add_co_ci_u32_e32 v11, vcc_lo, v11, v19, vcc_lo
	s_delay_alu instid0(VALU_DEP_4) | instskip(NEXT) | instid1(VALU_DEP_4)
	v_add_co_u32 v14, vcc_lo, v12, v18
	v_add_co_ci_u32_e32 v15, vcc_lo, v13, v19, vcc_lo
	global_load_b128 v[10:13], v[10:11], off
	global_load_b128 v[14:17], v[14:15], off
	v_div_scale_f32 v3, null, v7, v7, v9
	v_div_scale_f32 v25, vcc_lo, v9, v7, v9
	s_delay_alu instid0(VALU_DEP_2) | instskip(SKIP_2) | instid1(VALU_DEP_1)
	v_rcp_f32_e32 v21, v3
	s_waitcnt_depctr 0xfff
	v_fma_f32 v23, -v3, v21, 1.0
	v_fmac_f32_e32 v21, v23, v21
	v_div_scale_f32 v23, s0, v8, v7, v8
	s_delay_alu instid0(VALU_DEP_1) | instskip(NEXT) | instid1(VALU_DEP_1)
	v_mul_f32_e32 v26, v23, v22
	v_fma_f32 v28, -v20, v26, v23
	s_delay_alu instid0(VALU_DEP_1) | instskip(SKIP_1) | instid1(VALU_DEP_2)
	v_fmac_f32_e32 v26, v28, v22
	v_mul_f32_e32 v24, v25, v21
	v_fma_f32 v20, -v20, v26, v23
	s_delay_alu instid0(VALU_DEP_2) | instskip(NEXT) | instid1(VALU_DEP_1)
	v_fma_f32 v27, -v3, v24, v25
	v_fmac_f32_e32 v24, v27, v21
	s_delay_alu instid0(VALU_DEP_1) | instskip(NEXT) | instid1(VALU_DEP_1)
	v_fma_f32 v3, -v3, v24, v25
	v_div_fmas_f32 v3, v3, v21, v24
	s_mov_b32 vcc_lo, s0
	v_div_fmas_f32 v20, v20, v22, v26
	s_delay_alu instid0(VALU_DEP_2) | instskip(NEXT) | instid1(VALU_DEP_2)
	v_div_fixup_f32 v3, v3, v7, v9
	v_div_fixup_f32 v8, v20, v7, v8
	s_waitcnt vmcnt(1)
	v_and_b32_e32 v21, 0xffff, v10
	s_waitcnt vmcnt(0)
	v_and_b32_e32 v22, 0xffff, v14
	;;#ASMSTART
	v_cvt_f32_f16 v9, v21;
	;;#ASMEND
	;;#ASMSTART
	v_cvt_f32_f16 v20, v22;
	;;#ASMEND
	v_mul_f32_e32 v20, v3, v20
	s_delay_alu instid0(VALU_DEP_1)
	v_fmac_f32_e32 v20, v8, v9
	v_lshrrev_b32_e32 v9, 16, v10
	v_lshrrev_b32_e32 v10, 16, v14
	;;#ASMSTART
	v_cvt_f16_f32 v14, v20;

	;;#ASMEND
	;;#ASMSTART
	v_cvt_f32_f16 v9, v9;
	;;#ASMEND
	;;#ASMSTART
	v_cvt_f32_f16 v10, v10;
	;;#ASMEND
	s_delay_alu instid0(VALU_DEP_1) | instskip(SKIP_1) | instid1(VALU_DEP_2)
	v_mul_f32_e32 v10, v3, v10
	v_and_b32_e32 v20, 0xffff, v15
	v_dual_fmac_f32 v10, v8, v9 :: v_dual_and_b32 v9, 0xffff, v11
	;;#ASMSTART
	v_cvt_f16_f32 v10, v10;

	;;#ASMEND
	;;#ASMSTART
	v_cvt_f32_f16 v9, v9;
	;;#ASMEND
	;;#ASMSTART
	v_cvt_f32_f16 v20, v20;
	;;#ASMEND
	v_mul_f32_e32 v20, v3, v20
	s_delay_alu instid0(VALU_DEP_1)
	v_fmac_f32_e32 v20, v8, v9
	v_lshrrev_b32_e32 v9, 16, v11
	v_lshrrev_b32_e32 v11, 16, v15
	;;#ASMSTART
	v_cvt_f16_f32 v15, v20;

	;;#ASMEND
	;;#ASMSTART
	v_cvt_f32_f16 v9, v9;
	;;#ASMEND
	;;#ASMSTART
	v_cvt_f32_f16 v11, v11;
	;;#ASMEND
	s_delay_alu instid0(VALU_DEP_1) | instskip(NEXT) | instid1(VALU_DEP_1)
	v_dual_mul_f32 v11, v3, v11 :: v_dual_and_b32 v20, 0xffff, v16
	v_fmac_f32_e32 v11, v8, v9
	v_and_b32_e32 v9, 0xffff, v12
	;;#ASMSTART
	v_cvt_f16_f32 v11, v11;

	;;#ASMEND
	;;#ASMSTART
	v_cvt_f32_f16 v9, v9;
	;;#ASMEND
	;;#ASMSTART
	v_cvt_f32_f16 v20, v20;
	;;#ASMEND
	v_mul_f32_e32 v20, v3, v20
	s_delay_alu instid0(VALU_DEP_1)
	v_fmac_f32_e32 v20, v8, v9
	v_lshrrev_b32_e32 v9, 16, v12
	v_lshrrev_b32_e32 v12, 16, v16
	;;#ASMSTART
	v_cvt_f16_f32 v16, v20;

	;;#ASMEND
	;;#ASMSTART
	v_cvt_f32_f16 v9, v9;
	;;#ASMEND
	;;#ASMSTART
	v_cvt_f32_f16 v12, v12;
	;;#ASMEND
	s_delay_alu instid0(VALU_DEP_1) | instskip(SKIP_1) | instid1(VALU_DEP_2)
	v_mul_f32_e32 v12, v3, v12
	v_and_b32_e32 v20, 0xffff, v17
	v_fmac_f32_e32 v12, v8, v9
	v_and_b32_e32 v9, 0xffff, v13
	;;#ASMSTART
	v_cvt_f16_f32 v12, v12;

	;;#ASMEND
	;;#ASMSTART
	v_cvt_f32_f16 v9, v9;
	;;#ASMEND
	;;#ASMSTART
	v_cvt_f32_f16 v20, v20;
	;;#ASMEND
	v_mul_f32_e32 v20, v3, v20
	s_delay_alu instid0(VALU_DEP_1)
	v_fmac_f32_e32 v20, v8, v9
	v_lshrrev_b32_e32 v9, 16, v13
	v_lshrrev_b32_e32 v13, 16, v17
	;;#ASMSTART
	v_cvt_f16_f32 v17, v20;

	;;#ASMEND
	;;#ASMSTART
	v_cvt_f32_f16 v9, v9;
	;;#ASMEND
	;;#ASMSTART
	v_cvt_f32_f16 v13, v13;
	;;#ASMEND
	s_delay_alu instid0(VALU_DEP_1) | instskip(SKIP_2) | instid1(VALU_DEP_3)
	v_mul_f32_e32 v13, v3, v13
	v_add_co_u32 v3, vcc_lo, s4, v4
	v_add_co_ci_u32_e32 v4, vcc_lo, s5, v5, vcc_lo
	v_fmac_f32_e32 v13, v8, v9
	s_delay_alu instid0(VALU_DEP_3) | instskip(NEXT) | instid1(VALU_DEP_3)
	v_add_co_u32 v3, vcc_lo, v3, v18
	v_add_co_ci_u32_e32 v4, vcc_lo, v4, v19, vcc_lo
	v_perm_b32 v8, v10, v14, 0x5040100
	v_perm_b32 v9, v11, v15, 0x5040100
	;;#ASMSTART
	v_cvt_f16_f32 v5, v13;

	;;#ASMEND
	v_perm_b32 v10, v12, v16, 0x5040100
	v_perm_b32 v11, v5, v17, 0x5040100
	global_store_b128 v[3:4], v[8:11], off
.LBB1_3:
	s_or_b32 exec_lo, exec_lo, s1
	v_cmp_eq_u32_e32 vcc_lo, 0, v2
	s_cmp_lg_u64 s[6:7], 0
	s_cselect_b32 s0, -1, 0
	s_delay_alu instid0(SALU_CYCLE_1) | instskip(NEXT) | instid1(SALU_CYCLE_1)
	s_and_b32 s0, s0, vcc_lo
	s_and_b32 exec_lo, exec_lo, s0
	s_cbranch_execz .LBB1_5
; %bb.4:
	v_cmp_gt_f32_e32 vcc_lo, 0x800000, v7
	v_cndmask_b32_e64 v2, 1.0, 0x4f800000, vcc_lo
	s_delay_alu instid0(VALU_DEP_1) | instskip(NEXT) | instid1(VALU_DEP_1)
	v_mul_f32_e32 v2, v7, v2
	v_log_f32_e32 v2, v2
	s_waitcnt_depctr 0xfff
	v_mul_f32_e32 v3, 0x3f317217, v2
	v_cmp_gt_f32_e64 s0, 0x7f800000, |v2|
	s_delay_alu instid0(VALU_DEP_2) | instskip(NEXT) | instid1(VALU_DEP_1)
	v_fma_f32 v4, 0x3f317217, v2, -v3
	v_fmamk_f32 v4, v2, 0x3377d1cf, v4
	s_delay_alu instid0(VALU_DEP_1) | instskip(NEXT) | instid1(VALU_DEP_1)
	v_add_f32_e32 v3, v3, v4
	v_cndmask_b32_e64 v2, v2, v3, s0
	v_cndmask_b32_e64 v3, 0, 0x41b17218, vcc_lo
	v_add_co_u32 v0, vcc_lo, s6, v0
	v_add_co_ci_u32_e32 v1, vcc_lo, s7, v1, vcc_lo
	s_delay_alu instid0(VALU_DEP_3) | instskip(NEXT) | instid1(VALU_DEP_1)
	v_sub_f32_e32 v2, v2, v3
	v_add_f32_e32 v2, v6, v2
	global_store_b32 v[0:1], v2, off
.LBB1_5:
	s_nop 0
	s_sendmsg sendmsg(MSG_DEALLOC_VGPRS)
	s_endpgm
	.section	.rodata,"a",@progbits
	.p2align	6, 0x0
	.amdhsa_kernel _ZN4vllm24merge_attn_states_kernelItLj128EEEvPT_PfPKS1_PKfS5_S7_jjj
		.amdhsa_group_segment_fixed_size 0
		.amdhsa_private_segment_fixed_size 0
		.amdhsa_kernarg_size 60
		.amdhsa_user_sgpr_count 15
		.amdhsa_user_sgpr_dispatch_ptr 0
		.amdhsa_user_sgpr_queue_ptr 0
		.amdhsa_user_sgpr_kernarg_segment_ptr 1
		.amdhsa_user_sgpr_dispatch_id 0
		.amdhsa_user_sgpr_private_segment_size 0
		.amdhsa_wavefront_size32 1
		.amdhsa_uses_dynamic_stack 0
		.amdhsa_enable_private_segment 0
		.amdhsa_system_sgpr_workgroup_id_x 1
		.amdhsa_system_sgpr_workgroup_id_y 0
		.amdhsa_system_sgpr_workgroup_id_z 0
		.amdhsa_system_sgpr_workgroup_info 0
		.amdhsa_system_vgpr_workitem_id 0
		.amdhsa_next_free_vgpr 29
		.amdhsa_next_free_sgpr 20
		.amdhsa_reserve_vcc 1
		.amdhsa_float_round_mode_32 0
		.amdhsa_float_round_mode_16_64 0
		.amdhsa_float_denorm_mode_32 3
		.amdhsa_float_denorm_mode_16_64 3
		.amdhsa_dx10_clamp 1
		.amdhsa_ieee_mode 1
		.amdhsa_fp16_overflow 0
		.amdhsa_workgroup_processor_mode 1
		.amdhsa_memory_ordered 1
		.amdhsa_forward_progress 0
		.amdhsa_shared_vgpr_count 0
		.amdhsa_exception_fp_ieee_invalid_op 0
		.amdhsa_exception_fp_denorm_src 0
		.amdhsa_exception_fp_ieee_div_zero 0
		.amdhsa_exception_fp_ieee_overflow 0
		.amdhsa_exception_fp_ieee_underflow 0
		.amdhsa_exception_fp_ieee_inexact 0
		.amdhsa_exception_int_div_zero 0
	.end_amdhsa_kernel
	.section	.text._ZN4vllm24merge_attn_states_kernelItLj128EEEvPT_PfPKS1_PKfS5_S7_jjj,"axG",@progbits,_ZN4vllm24merge_attn_states_kernelItLj128EEEvPT_PfPKS1_PKfS5_S7_jjj,comdat
.Lfunc_end1:
	.size	_ZN4vllm24merge_attn_states_kernelItLj128EEEvPT_PfPKS1_PKfS5_S7_jjj, .Lfunc_end1-_ZN4vllm24merge_attn_states_kernelItLj128EEEvPT_PfPKS1_PKfS5_S7_jjj
                                        ; -- End function
	.section	.AMDGPU.csdata,"",@progbits
; Kernel info:
; codeLenInByte = 1952
; NumSgprs: 22
; NumVgprs: 29
; ScratchSize: 0
; MemoryBound: 0
; FloatMode: 240
; IeeeMode: 1
; LDSByteSize: 0 bytes/workgroup (compile time only)
; SGPRBlocks: 2
; VGPRBlocks: 3
; NumSGPRsForWavesPerEU: 22
; NumVGPRsForWavesPerEU: 29
; Occupancy: 16
; WaveLimiterHint : 0
; COMPUTE_PGM_RSRC2:SCRATCH_EN: 0
; COMPUTE_PGM_RSRC2:USER_SGPR: 15
; COMPUTE_PGM_RSRC2:TRAP_HANDLER: 0
; COMPUTE_PGM_RSRC2:TGID_X_EN: 1
; COMPUTE_PGM_RSRC2:TGID_Y_EN: 0
; COMPUTE_PGM_RSRC2:TGID_Z_EN: 0
; COMPUTE_PGM_RSRC2:TIDIG_COMP_CNT: 0
	.section	.text._ZN4vllm24merge_attn_states_kernelI14__hip_bfloat16Lj128EEEvPT_PfPKS2_PKfS6_S8_jjj,"axG",@progbits,_ZN4vllm24merge_attn_states_kernelI14__hip_bfloat16Lj128EEEvPT_PfPKS2_PKfS6_S8_jjj,comdat
	.protected	_ZN4vllm24merge_attn_states_kernelI14__hip_bfloat16Lj128EEEvPT_PfPKS2_PKfS6_S8_jjj ; -- Begin function _ZN4vllm24merge_attn_states_kernelI14__hip_bfloat16Lj128EEEvPT_PfPKS2_PKfS6_S8_jjj
	.globl	_ZN4vllm24merge_attn_states_kernelI14__hip_bfloat16Lj128EEEvPT_PfPKS2_PKfS6_S8_jjj
	.p2align	8
	.type	_ZN4vllm24merge_attn_states_kernelI14__hip_bfloat16Lj128EEEvPT_PfPKS2_PKfS6_S8_jjj,@function
_ZN4vllm24merge_attn_states_kernelI14__hip_bfloat16Lj128EEEvPT_PfPKS2_PKfS6_S8_jjj: ; @_ZN4vllm24merge_attn_states_kernelI14__hip_bfloat16Lj128EEEvPT_PfPKS2_PKfS6_S8_jjj
; %bb.0:
	s_load_b128 s[16:19], s[0:1], 0x30
	v_lshl_add_u32 v2, s15, 7, v0
	s_waitcnt lgkmcnt(0)
	s_lshr_b32 s2, s18, 3
	s_mul_i32 s3, s17, s16
	s_delay_alu instid0(SALU_CYCLE_1) | instskip(NEXT) | instid1(SALU_CYCLE_1)
	s_mul_i32 s3, s3, s2
	v_cmp_gt_u32_e32 vcc_lo, s3, v2
	s_and_saveexec_b32 s3, vcc_lo
	s_cbranch_execz .LBB2_37
; %bb.1:
	v_cvt_f32_u32_e32 v0, s2
	v_cvt_f32_u32_e32 v3, s17
	s_sub_i32 s3, 0, s2
	s_clause 0x1
	s_load_b128 s[12:15], s[0:1], 0x20
	s_load_b256 s[4:11], s[0:1], 0x0
	v_rcp_iflag_f32_e32 v0, v0
	v_rcp_iflag_f32_e32 v3, v3
	s_mov_b32 s1, exec_lo
	s_waitcnt_depctr 0xfff
	v_mul_f32_e32 v0, 0x4f7ffffe, v0
	s_delay_alu instid0(VALU_DEP_1) | instskip(NEXT) | instid1(VALU_DEP_1)
	v_cvt_u32_f32_e32 v0, v0
	v_mul_lo_u32 v1, s3, v0
	s_sub_i32 s3, 0, s17
	s_delay_alu instid0(VALU_DEP_1) | instskip(NEXT) | instid1(VALU_DEP_1)
	v_mul_hi_u32 v1, v0, v1
	v_dual_mul_f32 v1, 0x4f7ffffe, v3 :: v_dual_add_nc_u32 v0, v0, v1
	s_delay_alu instid0(VALU_DEP_1) | instskip(NEXT) | instid1(VALU_DEP_2)
	v_mul_hi_u32 v0, v2, v0
	v_cvt_u32_f32_e32 v1, v1
	s_delay_alu instid0(VALU_DEP_1) | instskip(NEXT) | instid1(VALU_DEP_3)
	v_mul_lo_u32 v4, s3, v1
	v_mul_lo_u32 v3, v0, s2
	v_add_nc_u32_e32 v5, 1, v0
	s_delay_alu instid0(VALU_DEP_3) | instskip(NEXT) | instid1(VALU_DEP_3)
	v_mul_hi_u32 v4, v1, v4
	v_sub_nc_u32_e32 v3, v2, v3
	s_delay_alu instid0(VALU_DEP_1) | instskip(SKIP_1) | instid1(VALU_DEP_4)
	v_subrev_nc_u32_e32 v6, s2, v3
	v_cmp_le_u32_e32 vcc_lo, s2, v3
	v_dual_cndmask_b32 v0, v0, v5 :: v_dual_add_nc_u32 v1, v1, v4
	s_delay_alu instid0(VALU_DEP_3) | instskip(NEXT) | instid1(VALU_DEP_2)
	v_cndmask_b32_e32 v3, v3, v6, vcc_lo
	v_add_nc_u32_e32 v5, 1, v0
	s_delay_alu instid0(VALU_DEP_2) | instskip(NEXT) | instid1(VALU_DEP_2)
	v_cmp_le_u32_e32 vcc_lo, s2, v3
	v_cndmask_b32_e32 v3, v0, v5, vcc_lo
	s_delay_alu instid0(VALU_DEP_1) | instskip(NEXT) | instid1(VALU_DEP_1)
	v_mul_hi_u32 v0, v3, v1
	v_add_nc_u32_e32 v4, 1, v0
	v_mul_lo_u32 v1, v0, s17
	s_delay_alu instid0(VALU_DEP_1) | instskip(NEXT) | instid1(VALU_DEP_1)
	v_sub_nc_u32_e32 v1, v3, v1
	v_subrev_nc_u32_e32 v5, s17, v1
	v_cmp_le_u32_e32 vcc_lo, s17, v1
	s_delay_alu instid0(VALU_DEP_2) | instskip(NEXT) | instid1(VALU_DEP_1)
	v_dual_cndmask_b32 v0, v0, v4 :: v_dual_cndmask_b32 v1, v1, v5
	v_add_nc_u32_e32 v4, 1, v0
	s_delay_alu instid0(VALU_DEP_2) | instskip(NEXT) | instid1(VALU_DEP_2)
	v_cmp_le_u32_e32 vcc_lo, s17, v1
	v_cndmask_b32_e32 v4, v0, v4, vcc_lo
	s_delay_alu instid0(VALU_DEP_1) | instskip(NEXT) | instid1(VALU_DEP_1)
	v_mul_lo_u32 v0, v4, s17
	v_sub_nc_u32_e32 v5, v3, v0
	s_delay_alu instid0(VALU_DEP_1) | instskip(SKIP_1) | instid1(VALU_DEP_1)
	v_mad_u64_u32 v[0:1], null, v5, s16, v[4:5]
	v_mov_b32_e32 v1, 0
	v_lshlrev_b64 v[8:9], 2, v[0:1]
	s_waitcnt lgkmcnt(0)
	s_delay_alu instid0(VALU_DEP_1) | instskip(NEXT) | instid1(VALU_DEP_2)
	v_add_co_u32 v4, vcc_lo, s14, v8
	v_add_co_ci_u32_e32 v5, vcc_lo, s15, v9, vcc_lo
	v_add_co_u32 v6, vcc_lo, s10, v8
	v_add_co_ci_u32_e32 v7, vcc_lo, s11, v9, vcc_lo
	global_load_b32 v0, v[4:5], off
	global_load_b32 v4, v[6:7], off
	s_waitcnt vmcnt(1)
	v_cmp_neq_f32_e64 vcc_lo, 0x7f800000, |v0|
	v_cndmask_b32_e32 v0, 0xff800000, v0, vcc_lo
	s_waitcnt vmcnt(0)
	v_cmp_neq_f32_e64 vcc_lo, 0x7f800000, |v4|
	s_delay_alu instid0(VALU_DEP_2) | instskip(SKIP_1) | instid1(VALU_DEP_1)
	v_max_f32_e32 v5, v0, v0
	v_cndmask_b32_e32 v4, 0xff800000, v4, vcc_lo
	v_max_f32_e32 v6, v4, v4
	s_delay_alu instid0(VALU_DEP_1) | instskip(NEXT) | instid1(VALU_DEP_1)
	v_max_f32_e32 v15, v6, v5
	v_sub_f32_e32 v4, v4, v15
	s_delay_alu instid0(VALU_DEP_1) | instskip(SKIP_1) | instid1(VALU_DEP_2)
	v_mul_f32_e32 v5, 0x3fb8aa3b, v4
	v_cmp_ngt_f32_e32 vcc_lo, 0xc2ce8ed0, v4
	v_fma_f32 v7, 0x3fb8aa3b, v4, -v5
	v_rndne_f32_e32 v10, v5
	s_delay_alu instid0(VALU_DEP_2) | instskip(NEXT) | instid1(VALU_DEP_2)
	v_fmac_f32_e32 v7, 0x32a5705f, v4
	v_dual_sub_f32 v5, v5, v10 :: v_dual_sub_f32 v0, v0, v15
	s_delay_alu instid0(VALU_DEP_1) | instskip(SKIP_1) | instid1(VALU_DEP_2)
	v_dual_add_f32 v5, v5, v7 :: v_dual_mul_f32 v6, 0x3fb8aa3b, v0
	v_cvt_i32_f32_e32 v7, v10
	v_exp_f32_e32 v5, v5
	s_delay_alu instid0(VALU_DEP_2) | instskip(SKIP_1) | instid1(VALU_DEP_2)
	v_fma_f32 v11, 0x3fb8aa3b, v0, -v6
	v_rndne_f32_e32 v12, v6
	v_fmac_f32_e32 v11, 0x32a5705f, v0
	s_delay_alu instid0(VALU_DEP_2) | instskip(SKIP_2) | instid1(VALU_DEP_1)
	v_cvt_i32_f32_e32 v10, v12
	s_waitcnt_depctr 0xfff
	v_ldexp_f32 v5, v5, v7
	v_dual_cndmask_b32 v5, 0, v5 :: v_dual_sub_f32 v6, v6, v12
	v_cmp_ngt_f32_e32 vcc_lo, 0xc2ce8ed0, v0
	s_delay_alu instid0(VALU_DEP_2) | instskip(SKIP_1) | instid1(VALU_DEP_2)
	v_add_f32_e32 v6, v6, v11
	v_mul_lo_u32 v11, v3, s2
	v_exp_f32_e32 v6, v6
	s_waitcnt_depctr 0xfff
	v_ldexp_f32 v6, v6, v10
	v_sub_nc_u32_e32 v10, v2, v11
	s_delay_alu instid0(VALU_DEP_2)
	v_cndmask_b32_e32 v6, 0, v6, vcc_lo
	v_cmp_nlt_f32_e32 vcc_lo, 0x42b17218, v4
	v_cndmask_b32_e32 v17, 0x7f800000, v5, vcc_lo
	v_cmp_nlt_f32_e32 vcc_lo, 0x42b17218, v0
	v_lshlrev_b32_e32 v0, 3, v10
	v_cndmask_b32_e32 v18, 0x7f800000, v6, vcc_lo
	s_delay_alu instid0(VALU_DEP_1) | instskip(NEXT) | instid1(VALU_DEP_3)
	v_add_f32_e32 v16, v17, v18
	v_cmpx_gt_u32_e64 s18, v0
	s_cbranch_execz .LBB2_35
; %bb.2:
	s_delay_alu instid0(VALU_DEP_2) | instskip(SKIP_2) | instid1(VALU_DEP_3)
	v_div_scale_f32 v20, null, v16, v16, v18
	v_mul_lo_u32 v0, v3, s18
	v_div_scale_f32 v19, null, v16, v16, v17
	v_rcp_f32_e32 v22, v20
	s_delay_alu instid0(VALU_DEP_1) | instskip(NEXT) | instid1(VALU_DEP_2)
	v_rcp_f32_e32 v21, v19
	v_lshlrev_b64 v[13:14], 1, v[0:1]
	s_waitcnt_depctr 0xfff
	v_fma_f32 v24, -v20, v22, 1.0
	v_mov_b32_e32 v11, v1
	v_add_co_u32 v0, vcc_lo, s12, v13
	v_add_co_ci_u32_e32 v1, vcc_lo, s13, v14, vcc_lo
	s_delay_alu instid0(VALU_DEP_4) | instskip(NEXT) | instid1(VALU_DEP_4)
	v_fmac_f32_e32 v22, v24, v22
	v_lshlrev_b64 v[11:12], 4, v[10:11]
	v_add_co_u32 v2, vcc_lo, s8, v13
	v_add_co_ci_u32_e32 v3, vcc_lo, s9, v14, vcc_lo
	v_fma_f32 v23, -v19, v21, 1.0
	s_delay_alu instid0(VALU_DEP_4)
	v_add_co_u32 v0, vcc_lo, v0, v11
	v_add_co_ci_u32_e32 v1, vcc_lo, v1, v12, vcc_lo
	v_add_co_u32 v2, vcc_lo, v2, v11
	v_add_co_ci_u32_e32 v3, vcc_lo, v3, v12, vcc_lo
	global_load_b128 v[4:7], v[0:1], off
	global_load_b128 v[0:3], v[2:3], off
	v_div_scale_f32 v24, s0, v18, v16, v18
	v_fmac_f32_e32 v21, v23, v21
	v_div_scale_f32 v23, vcc_lo, v17, v16, v17
	s_delay_alu instid0(VALU_DEP_3) | instskip(NEXT) | instid1(VALU_DEP_1)
	v_mul_f32_e32 v26, v24, v22
	v_fma_f32 v28, -v20, v26, v24
	s_delay_alu instid0(VALU_DEP_1) | instskip(NEXT) | instid1(VALU_DEP_1)
	v_dual_mul_f32 v25, v23, v21 :: v_dual_fmac_f32 v26, v28, v22
	v_fma_f32 v27, -v19, v25, v23
	s_delay_alu instid0(VALU_DEP_2) | instskip(NEXT) | instid1(VALU_DEP_2)
	v_fma_f32 v20, -v20, v26, v24
	v_fmac_f32_e32 v25, v27, v21
	s_delay_alu instid0(VALU_DEP_1) | instskip(NEXT) | instid1(VALU_DEP_1)
	v_fma_f32 v19, -v19, v25, v23
	v_div_fmas_f32 v19, v19, v21, v25
	s_mov_b32 vcc_lo, s0
	v_div_fmas_f32 v20, v20, v22, v26
	s_delay_alu instid0(VALU_DEP_2) | instskip(NEXT) | instid1(VALU_DEP_2)
	v_div_fixup_f32 v19, v19, v16, v17
	v_div_fixup_f32 v18, v20, v16, v18
	s_waitcnt vmcnt(1)
	v_lshlrev_b32_e32 v20, 16, v4
	s_waitcnt vmcnt(0)
	v_lshlrev_b32_e32 v17, 16, v0
	s_delay_alu instid0(VALU_DEP_2) | instskip(NEXT) | instid1(VALU_DEP_1)
	v_mul_f32_e32 v20, v18, v20
	v_fmac_f32_e32 v20, v19, v17
	s_delay_alu instid0(VALU_DEP_1) | instskip(NEXT) | instid1(VALU_DEP_1)
	v_and_b32_e32 v17, 0x7f800000, v20
	v_cmp_ne_u32_e32 vcc_lo, 0x7f800000, v17
                                        ; implicit-def: $vgpr17
	s_and_saveexec_b32 s0, vcc_lo
	s_delay_alu instid0(SALU_CYCLE_1)
	s_xor_b32 s0, exec_lo, s0
; %bb.3:
	v_bfe_u32 v17, v20, 16, 1
	s_delay_alu instid0(VALU_DEP_1)
	v_add3_u32 v17, v20, v17, 0x7fff
                                        ; implicit-def: $vgpr20
; %bb.4:
	s_and_not1_saveexec_b32 s0, s0
; %bb.5:
	v_and_b32_e32 v17, 0xffff, v20
	v_or_b32_e32 v21, 0x10000, v20
	s_delay_alu instid0(VALU_DEP_2) | instskip(NEXT) | instid1(VALU_DEP_2)
	v_cmp_eq_u32_e32 vcc_lo, 0, v17
	v_cndmask_b32_e32 v17, v21, v20, vcc_lo
; %bb.6:
	s_or_b32 exec_lo, exec_lo, s0
	v_and_b32_e32 v4, 0xffff0000, v4
	v_and_b32_e32 v0, 0xffff0000, v0
	s_delay_alu instid0(VALU_DEP_2) | instskip(NEXT) | instid1(VALU_DEP_1)
	v_mul_f32_e32 v4, v18, v4
	v_fmac_f32_e32 v4, v19, v0
	s_delay_alu instid0(VALU_DEP_1) | instskip(NEXT) | instid1(VALU_DEP_1)
	v_and_b32_e32 v0, 0x7f800000, v4
	v_cmp_ne_u32_e32 vcc_lo, 0x7f800000, v0
                                        ; implicit-def: $vgpr0
	s_and_saveexec_b32 s0, vcc_lo
	s_delay_alu instid0(SALU_CYCLE_1)
	s_xor_b32 s0, exec_lo, s0
; %bb.7:
	v_bfe_u32 v0, v4, 16, 1
	s_delay_alu instid0(VALU_DEP_1)
	v_add3_u32 v0, v4, v0, 0x7fff
                                        ; implicit-def: $vgpr4
; %bb.8:
	s_and_not1_saveexec_b32 s0, s0
; %bb.9:
	v_and_b32_e32 v0, 0xffff, v4
	v_or_b32_e32 v20, 0x10000, v4
	s_delay_alu instid0(VALU_DEP_2) | instskip(NEXT) | instid1(VALU_DEP_2)
	v_cmp_eq_u32_e32 vcc_lo, 0, v0
	v_cndmask_b32_e32 v0, v20, v4, vcc_lo
; %bb.10:
	s_or_b32 exec_lo, exec_lo, s0
	v_lshlrev_b32_e32 v4, 16, v5
	s_delay_alu instid0(VALU_DEP_1) | instskip(NEXT) | instid1(VALU_DEP_1)
	v_dual_mul_f32 v20, v18, v4 :: v_dual_lshlrev_b32 v21, 16, v1
	v_fmac_f32_e32 v20, v19, v21
	s_delay_alu instid0(VALU_DEP_1) | instskip(NEXT) | instid1(VALU_DEP_1)
	v_and_b32_e32 v4, 0x7f800000, v20
	v_cmp_ne_u32_e32 vcc_lo, 0x7f800000, v4
                                        ; implicit-def: $vgpr4
	s_and_saveexec_b32 s0, vcc_lo
	s_delay_alu instid0(SALU_CYCLE_1)
	s_xor_b32 s0, exec_lo, s0
; %bb.11:
	v_bfe_u32 v4, v20, 16, 1
	s_delay_alu instid0(VALU_DEP_1)
	v_add3_u32 v4, v20, v4, 0x7fff
                                        ; implicit-def: $vgpr20
; %bb.12:
	s_and_not1_saveexec_b32 s0, s0
; %bb.13:
	v_and_b32_e32 v4, 0xffff, v20
	v_or_b32_e32 v21, 0x10000, v20
	s_delay_alu instid0(VALU_DEP_2) | instskip(NEXT) | instid1(VALU_DEP_2)
	v_cmp_eq_u32_e32 vcc_lo, 0, v4
	v_cndmask_b32_e32 v4, v21, v20, vcc_lo
; %bb.14:
	s_or_b32 exec_lo, exec_lo, s0
	v_and_b32_e32 v5, 0xffff0000, v5
	v_and_b32_e32 v1, 0xffff0000, v1
	s_delay_alu instid0(VALU_DEP_2) | instskip(NEXT) | instid1(VALU_DEP_1)
	v_mul_f32_e32 v5, v18, v5
	v_fmac_f32_e32 v5, v19, v1
	s_delay_alu instid0(VALU_DEP_1) | instskip(NEXT) | instid1(VALU_DEP_1)
	v_and_b32_e32 v1, 0x7f800000, v5
	v_cmp_ne_u32_e32 vcc_lo, 0x7f800000, v1
                                        ; implicit-def: $vgpr1
	s_and_saveexec_b32 s0, vcc_lo
	s_delay_alu instid0(SALU_CYCLE_1)
	s_xor_b32 s0, exec_lo, s0
; %bb.15:
	v_bfe_u32 v1, v5, 16, 1
	s_delay_alu instid0(VALU_DEP_1)
	v_add3_u32 v1, v5, v1, 0x7fff
                                        ; implicit-def: $vgpr5
; %bb.16:
	s_and_not1_saveexec_b32 s0, s0
; %bb.17:
	v_and_b32_e32 v1, 0xffff, v5
	v_or_b32_e32 v20, 0x10000, v5
	s_delay_alu instid0(VALU_DEP_2) | instskip(NEXT) | instid1(VALU_DEP_2)
	v_cmp_eq_u32_e32 vcc_lo, 0, v1
	v_cndmask_b32_e32 v1, v20, v5, vcc_lo
; %bb.18:
	s_or_b32 exec_lo, exec_lo, s0
	v_lshlrev_b32_e32 v21, 16, v2
	v_lshlrev_b32_e32 v5, 16, v6
	s_delay_alu instid0(VALU_DEP_1) | instskip(NEXT) | instid1(VALU_DEP_1)
	v_mul_f32_e32 v20, v18, v5
	v_fmac_f32_e32 v20, v19, v21
	s_delay_alu instid0(VALU_DEP_1) | instskip(NEXT) | instid1(VALU_DEP_1)
	v_and_b32_e32 v5, 0x7f800000, v20
	v_cmp_ne_u32_e32 vcc_lo, 0x7f800000, v5
                                        ; implicit-def: $vgpr5
	s_and_saveexec_b32 s0, vcc_lo
	s_delay_alu instid0(SALU_CYCLE_1)
	s_xor_b32 s0, exec_lo, s0
; %bb.19:
	v_bfe_u32 v5, v20, 16, 1
	s_delay_alu instid0(VALU_DEP_1)
	v_add3_u32 v5, v20, v5, 0x7fff
                                        ; implicit-def: $vgpr20
; %bb.20:
	s_and_not1_saveexec_b32 s0, s0
; %bb.21:
	v_and_b32_e32 v5, 0xffff, v20
	v_or_b32_e32 v21, 0x10000, v20
	s_delay_alu instid0(VALU_DEP_2) | instskip(NEXT) | instid1(VALU_DEP_2)
	v_cmp_eq_u32_e32 vcc_lo, 0, v5
	v_cndmask_b32_e32 v5, v21, v20, vcc_lo
; %bb.22:
	s_or_b32 exec_lo, exec_lo, s0
	v_and_b32_e32 v6, 0xffff0000, v6
	v_and_b32_e32 v2, 0xffff0000, v2
	s_delay_alu instid0(VALU_DEP_2) | instskip(NEXT) | instid1(VALU_DEP_1)
	v_mul_f32_e32 v6, v18, v6
	v_fmac_f32_e32 v6, v19, v2
	s_delay_alu instid0(VALU_DEP_1) | instskip(NEXT) | instid1(VALU_DEP_1)
	v_and_b32_e32 v2, 0x7f800000, v6
	v_cmp_ne_u32_e32 vcc_lo, 0x7f800000, v2
                                        ; implicit-def: $vgpr2
	s_and_saveexec_b32 s0, vcc_lo
	s_delay_alu instid0(SALU_CYCLE_1)
	s_xor_b32 s0, exec_lo, s0
; %bb.23:
	v_bfe_u32 v2, v6, 16, 1
	s_delay_alu instid0(VALU_DEP_1)
	v_add3_u32 v2, v6, v2, 0x7fff
                                        ; implicit-def: $vgpr6
; %bb.24:
	s_and_not1_saveexec_b32 s0, s0
; %bb.25:
	v_and_b32_e32 v2, 0xffff, v6
	v_or_b32_e32 v20, 0x10000, v6
	s_delay_alu instid0(VALU_DEP_2) | instskip(NEXT) | instid1(VALU_DEP_2)
	v_cmp_eq_u32_e32 vcc_lo, 0, v2
	v_cndmask_b32_e32 v2, v20, v6, vcc_lo
; %bb.26:
	s_or_b32 exec_lo, exec_lo, s0
	v_lshlrev_b32_e32 v6, 16, v7
	s_delay_alu instid0(VALU_DEP_1) | instskip(NEXT) | instid1(VALU_DEP_1)
	v_dual_mul_f32 v20, v18, v6 :: v_dual_lshlrev_b32 v21, 16, v3
	v_fmac_f32_e32 v20, v19, v21
	s_delay_alu instid0(VALU_DEP_1) | instskip(NEXT) | instid1(VALU_DEP_1)
	v_and_b32_e32 v6, 0x7f800000, v20
	v_cmp_ne_u32_e32 vcc_lo, 0x7f800000, v6
                                        ; implicit-def: $vgpr6
	s_and_saveexec_b32 s0, vcc_lo
	s_delay_alu instid0(SALU_CYCLE_1)
	s_xor_b32 s0, exec_lo, s0
; %bb.27:
	v_bfe_u32 v6, v20, 16, 1
	s_delay_alu instid0(VALU_DEP_1)
	v_add3_u32 v6, v20, v6, 0x7fff
                                        ; implicit-def: $vgpr20
; %bb.28:
	s_and_not1_saveexec_b32 s0, s0
; %bb.29:
	v_and_b32_e32 v6, 0xffff, v20
	v_or_b32_e32 v21, 0x10000, v20
	s_delay_alu instid0(VALU_DEP_2) | instskip(NEXT) | instid1(VALU_DEP_2)
	v_cmp_eq_u32_e32 vcc_lo, 0, v6
	v_cndmask_b32_e32 v6, v21, v20, vcc_lo
; %bb.30:
	s_or_b32 exec_lo, exec_lo, s0
	v_and_b32_e32 v7, 0xffff0000, v7
	v_and_b32_e32 v3, 0xffff0000, v3
	s_delay_alu instid0(VALU_DEP_2) | instskip(NEXT) | instid1(VALU_DEP_1)
	v_mul_f32_e32 v7, v18, v7
	v_fmac_f32_e32 v7, v19, v3
	s_delay_alu instid0(VALU_DEP_1) | instskip(NEXT) | instid1(VALU_DEP_1)
	v_and_b32_e32 v3, 0x7f800000, v7
	v_cmp_ne_u32_e32 vcc_lo, 0x7f800000, v3
                                        ; implicit-def: $vgpr3
	s_and_saveexec_b32 s0, vcc_lo
	s_delay_alu instid0(SALU_CYCLE_1)
	s_xor_b32 s0, exec_lo, s0
; %bb.31:
	v_bfe_u32 v3, v7, 16, 1
	s_delay_alu instid0(VALU_DEP_1)
	v_add3_u32 v3, v7, v3, 0x7fff
                                        ; implicit-def: $vgpr7
; %bb.32:
	s_and_not1_saveexec_b32 s0, s0
; %bb.33:
	v_and_b32_e32 v3, 0xffff, v7
	v_or_b32_e32 v18, 0x10000, v7
	s_delay_alu instid0(VALU_DEP_2) | instskip(NEXT) | instid1(VALU_DEP_2)
	v_cmp_eq_u32_e32 vcc_lo, 0, v3
	v_cndmask_b32_e32 v3, v18, v7, vcc_lo
; %bb.34:
	s_or_b32 exec_lo, exec_lo, s0
	v_add_co_u32 v7, vcc_lo, s4, v13
	v_add_co_ci_u32_e32 v13, vcc_lo, s5, v14, vcc_lo
	s_delay_alu instid0(VALU_DEP_3) | instskip(NEXT) | instid1(VALU_DEP_3)
	v_perm_b32 v3, v3, v6, 0x7060302
	v_add_co_u32 v11, vcc_lo, v7, v11
	s_delay_alu instid0(VALU_DEP_3)
	v_add_co_ci_u32_e32 v12, vcc_lo, v13, v12, vcc_lo
	v_perm_b32 v2, v2, v5, 0x7060302
	v_perm_b32 v1, v1, v4, 0x7060302
	;; [unrolled: 1-line block ×3, first 2 shown]
	global_store_b128 v[11:12], v[0:3], off
.LBB2_35:
	s_or_b32 exec_lo, exec_lo, s1
	v_cmp_eq_u32_e32 vcc_lo, 0, v10
	s_cmp_lg_u64 s[6:7], 0
	s_cselect_b32 s0, -1, 0
	s_delay_alu instid0(SALU_CYCLE_1) | instskip(NEXT) | instid1(SALU_CYCLE_1)
	s_and_b32 s0, s0, vcc_lo
	s_and_b32 exec_lo, exec_lo, s0
	s_cbranch_execz .LBB2_37
; %bb.36:
	v_cmp_gt_f32_e32 vcc_lo, 0x800000, v16
	v_cndmask_b32_e64 v0, 1.0, 0x4f800000, vcc_lo
	s_delay_alu instid0(VALU_DEP_1) | instskip(NEXT) | instid1(VALU_DEP_1)
	v_mul_f32_e32 v0, v16, v0
	v_log_f32_e32 v0, v0
	s_waitcnt_depctr 0xfff
	v_mul_f32_e32 v1, 0x3f317217, v0
	v_cmp_gt_f32_e64 s0, 0x7f800000, |v0|
	s_delay_alu instid0(VALU_DEP_2) | instskip(NEXT) | instid1(VALU_DEP_1)
	v_fma_f32 v2, 0x3f317217, v0, -v1
	v_fmamk_f32 v2, v0, 0x3377d1cf, v2
	s_delay_alu instid0(VALU_DEP_1) | instskip(NEXT) | instid1(VALU_DEP_1)
	v_add_f32_e32 v1, v1, v2
	v_cndmask_b32_e64 v0, v0, v1, s0
	v_cndmask_b32_e64 v1, 0, 0x41b17218, vcc_lo
	s_delay_alu instid0(VALU_DEP_1) | instskip(SKIP_2) | instid1(VALU_DEP_3)
	v_sub_f32_e32 v2, v0, v1
	v_add_co_u32 v0, vcc_lo, s6, v8
	v_add_co_ci_u32_e32 v1, vcc_lo, s7, v9, vcc_lo
	v_add_f32_e32 v2, v15, v2
	global_store_b32 v[0:1], v2, off
.LBB2_37:
	s_nop 0
	s_sendmsg sendmsg(MSG_DEALLOC_VGPRS)
	s_endpgm
	.section	.rodata,"a",@progbits
	.p2align	6, 0x0
	.amdhsa_kernel _ZN4vllm24merge_attn_states_kernelI14__hip_bfloat16Lj128EEEvPT_PfPKS2_PKfS6_S8_jjj
		.amdhsa_group_segment_fixed_size 0
		.amdhsa_private_segment_fixed_size 0
		.amdhsa_kernarg_size 60
		.amdhsa_user_sgpr_count 15
		.amdhsa_user_sgpr_dispatch_ptr 0
		.amdhsa_user_sgpr_queue_ptr 0
		.amdhsa_user_sgpr_kernarg_segment_ptr 1
		.amdhsa_user_sgpr_dispatch_id 0
		.amdhsa_user_sgpr_private_segment_size 0
		.amdhsa_wavefront_size32 1
		.amdhsa_uses_dynamic_stack 0
		.amdhsa_enable_private_segment 0
		.amdhsa_system_sgpr_workgroup_id_x 1
		.amdhsa_system_sgpr_workgroup_id_y 0
		.amdhsa_system_sgpr_workgroup_id_z 0
		.amdhsa_system_sgpr_workgroup_info 0
		.amdhsa_system_vgpr_workitem_id 0
		.amdhsa_next_free_vgpr 29
		.amdhsa_next_free_sgpr 20
		.amdhsa_reserve_vcc 1
		.amdhsa_float_round_mode_32 0
		.amdhsa_float_round_mode_16_64 0
		.amdhsa_float_denorm_mode_32 3
		.amdhsa_float_denorm_mode_16_64 3
		.amdhsa_dx10_clamp 1
		.amdhsa_ieee_mode 1
		.amdhsa_fp16_overflow 0
		.amdhsa_workgroup_processor_mode 1
		.amdhsa_memory_ordered 1
		.amdhsa_forward_progress 0
		.amdhsa_shared_vgpr_count 0
		.amdhsa_exception_fp_ieee_invalid_op 0
		.amdhsa_exception_fp_denorm_src 0
		.amdhsa_exception_fp_ieee_div_zero 0
		.amdhsa_exception_fp_ieee_overflow 0
		.amdhsa_exception_fp_ieee_underflow 0
		.amdhsa_exception_fp_ieee_inexact 0
		.amdhsa_exception_int_div_zero 0
	.end_amdhsa_kernel
	.section	.text._ZN4vllm24merge_attn_states_kernelI14__hip_bfloat16Lj128EEEvPT_PfPKS2_PKfS6_S8_jjj,"axG",@progbits,_ZN4vllm24merge_attn_states_kernelI14__hip_bfloat16Lj128EEEvPT_PfPKS2_PKfS6_S8_jjj,comdat
.Lfunc_end2:
	.size	_ZN4vllm24merge_attn_states_kernelI14__hip_bfloat16Lj128EEEvPT_PfPKS2_PKfS6_S8_jjj, .Lfunc_end2-_ZN4vllm24merge_attn_states_kernelI14__hip_bfloat16Lj128EEEvPT_PfPKS2_PKfS6_S8_jjj
                                        ; -- End function
	.section	.AMDGPU.csdata,"",@progbits
; Kernel info:
; codeLenInByte = 2208
; NumSgprs: 22
; NumVgprs: 29
; ScratchSize: 0
; MemoryBound: 0
; FloatMode: 240
; IeeeMode: 1
; LDSByteSize: 0 bytes/workgroup (compile time only)
; SGPRBlocks: 2
; VGPRBlocks: 3
; NumSGPRsForWavesPerEU: 22
; NumVGPRsForWavesPerEU: 29
; Occupancy: 16
; WaveLimiterHint : 0
; COMPUTE_PGM_RSRC2:SCRATCH_EN: 0
; COMPUTE_PGM_RSRC2:USER_SGPR: 15
; COMPUTE_PGM_RSRC2:TRAP_HANDLER: 0
; COMPUTE_PGM_RSRC2:TGID_X_EN: 1
; COMPUTE_PGM_RSRC2:TGID_Y_EN: 0
; COMPUTE_PGM_RSRC2:TGID_Z_EN: 0
; COMPUTE_PGM_RSRC2:TIDIG_COMP_CNT: 0
	.text
	.p2alignl 7, 3214868480
	.fill 96, 4, 3214868480
	.type	__hip_cuid_84ec67c66a1ec804,@object ; @__hip_cuid_84ec67c66a1ec804
	.section	.bss,"aw",@nobits
	.globl	__hip_cuid_84ec67c66a1ec804
__hip_cuid_84ec67c66a1ec804:
	.byte	0                               ; 0x0
	.size	__hip_cuid_84ec67c66a1ec804, 1

	.ident	"AMD clang version 19.0.0git (https://github.com/RadeonOpenCompute/llvm-project roc-6.4.0 25133 c7fe45cf4b819c5991fe208aaa96edf142730f1d)"
	.section	".note.GNU-stack","",@progbits
	.addrsig
	.addrsig_sym __hip_cuid_84ec67c66a1ec804
	.amdgpu_metadata
---
amdhsa.kernels:
  - .args:
      - .address_space:  global
        .offset:         0
        .size:           8
        .value_kind:     global_buffer
      - .address_space:  global
        .offset:         8
        .size:           8
        .value_kind:     global_buffer
      - .address_space:  global
        .offset:         16
        .size:           8
        .value_kind:     global_buffer
      - .address_space:  global
        .offset:         24
        .size:           8
        .value_kind:     global_buffer
      - .address_space:  global
        .offset:         32
        .size:           8
        .value_kind:     global_buffer
      - .address_space:  global
        .offset:         40
        .size:           8
        .value_kind:     global_buffer
      - .offset:         48
        .size:           4
        .value_kind:     by_value
      - .offset:         52
        .size:           4
        .value_kind:     by_value
      - .offset:         56
        .size:           4
        .value_kind:     by_value
    .group_segment_fixed_size: 0
    .kernarg_segment_align: 8
    .kernarg_segment_size: 60
    .language:       OpenCL C
    .language_version:
      - 2
      - 0
    .max_flat_workgroup_size: 1024
    .name:           _ZN4vllm24merge_attn_states_kernelIfLj128EEEvPT_PfPKS1_PKfS5_S7_jjj
    .private_segment_fixed_size: 0
    .sgpr_count:     22
    .sgpr_spill_count: 0
    .symbol:         _ZN4vllm24merge_attn_states_kernelIfLj128EEEvPT_PfPKS1_PKfS5_S7_jjj.kd
    .uniform_work_group_size: 1
    .uses_dynamic_stack: false
    .vgpr_count:     29
    .vgpr_spill_count: 0
    .wavefront_size: 32
    .workgroup_processor_mode: 1
  - .args:
      - .address_space:  global
        .offset:         0
        .size:           8
        .value_kind:     global_buffer
      - .address_space:  global
        .offset:         8
        .size:           8
        .value_kind:     global_buffer
      - .address_space:  global
        .offset:         16
        .size:           8
        .value_kind:     global_buffer
      - .address_space:  global
        .offset:         24
        .size:           8
        .value_kind:     global_buffer
      - .address_space:  global
        .offset:         32
        .size:           8
        .value_kind:     global_buffer
      - .address_space:  global
        .offset:         40
        .size:           8
        .value_kind:     global_buffer
      - .offset:         48
        .size:           4
        .value_kind:     by_value
      - .offset:         52
        .size:           4
        .value_kind:     by_value
      - .offset:         56
        .size:           4
        .value_kind:     by_value
    .group_segment_fixed_size: 0
    .kernarg_segment_align: 8
    .kernarg_segment_size: 60
    .language:       OpenCL C
    .language_version:
      - 2
      - 0
    .max_flat_workgroup_size: 1024
    .name:           _ZN4vllm24merge_attn_states_kernelItLj128EEEvPT_PfPKS1_PKfS5_S7_jjj
    .private_segment_fixed_size: 0
    .sgpr_count:     22
    .sgpr_spill_count: 0
    .symbol:         _ZN4vllm24merge_attn_states_kernelItLj128EEEvPT_PfPKS1_PKfS5_S7_jjj.kd
    .uniform_work_group_size: 1
    .uses_dynamic_stack: false
    .vgpr_count:     29
    .vgpr_spill_count: 0
    .wavefront_size: 32
    .workgroup_processor_mode: 1
  - .args:
      - .address_space:  global
        .offset:         0
        .size:           8
        .value_kind:     global_buffer
      - .address_space:  global
        .offset:         8
        .size:           8
        .value_kind:     global_buffer
      - .address_space:  global
        .offset:         16
        .size:           8
        .value_kind:     global_buffer
      - .address_space:  global
        .offset:         24
        .size:           8
        .value_kind:     global_buffer
      - .address_space:  global
        .offset:         32
        .size:           8
        .value_kind:     global_buffer
      - .address_space:  global
        .offset:         40
        .size:           8
        .value_kind:     global_buffer
      - .offset:         48
        .size:           4
        .value_kind:     by_value
      - .offset:         52
        .size:           4
        .value_kind:     by_value
      - .offset:         56
        .size:           4
        .value_kind:     by_value
    .group_segment_fixed_size: 0
    .kernarg_segment_align: 8
    .kernarg_segment_size: 60
    .language:       OpenCL C
    .language_version:
      - 2
      - 0
    .max_flat_workgroup_size: 1024
    .name:           _ZN4vllm24merge_attn_states_kernelI14__hip_bfloat16Lj128EEEvPT_PfPKS2_PKfS6_S8_jjj
    .private_segment_fixed_size: 0
    .sgpr_count:     22
    .sgpr_spill_count: 0
    .symbol:         _ZN4vllm24merge_attn_states_kernelI14__hip_bfloat16Lj128EEEvPT_PfPKS2_PKfS6_S8_jjj.kd
    .uniform_work_group_size: 1
    .uses_dynamic_stack: false
    .vgpr_count:     29
    .vgpr_spill_count: 0
    .wavefront_size: 32
    .workgroup_processor_mode: 1
amdhsa.target:   amdgcn-amd-amdhsa--gfx1100
amdhsa.version:
  - 1
  - 2
...

	.end_amdgpu_metadata
